;; amdgpu-corpus repo=ROCm/rocFFT kind=compiled arch=gfx1100 opt=O3
	.text
	.amdgcn_target "amdgcn-amd-amdhsa--gfx1100"
	.amdhsa_code_object_version 6
	.protected	fft_rtc_fwd_len1620_factors_10_3_3_6_3_wgs_162_tpt_162_halfLds_half_ip_CI_sbrr_dirReg ; -- Begin function fft_rtc_fwd_len1620_factors_10_3_3_6_3_wgs_162_tpt_162_halfLds_half_ip_CI_sbrr_dirReg
	.globl	fft_rtc_fwd_len1620_factors_10_3_3_6_3_wgs_162_tpt_162_halfLds_half_ip_CI_sbrr_dirReg
	.p2align	8
	.type	fft_rtc_fwd_len1620_factors_10_3_3_6_3_wgs_162_tpt_162_halfLds_half_ip_CI_sbrr_dirReg,@function
fft_rtc_fwd_len1620_factors_10_3_3_6_3_wgs_162_tpt_162_halfLds_half_ip_CI_sbrr_dirReg: ; @fft_rtc_fwd_len1620_factors_10_3_3_6_3_wgs_162_tpt_162_halfLds_half_ip_CI_sbrr_dirReg
; %bb.0:
	s_clause 0x2
	s_load_b64 s[12:13], s[0:1], 0x18
	s_load_b128 s[4:7], s[0:1], 0x0
	s_load_b64 s[10:11], s[0:1], 0x50
	v_mul_u32_u24_e32 v1, 0x195, v0
	v_mov_b32_e32 v3, 0
	v_mov_b32_e32 v4, 0
	s_delay_alu instid0(VALU_DEP_3) | instskip(SKIP_1) | instid1(VALU_DEP_1)
	v_lshrrev_b32_e32 v2, 16, v1
	v_mov_b32_e32 v1, 0
	v_dual_mov_b32 v6, v1 :: v_dual_add_nc_u32 v5, s15, v2
	s_waitcnt lgkmcnt(0)
	s_load_b64 s[8:9], s[12:13], 0x0
	v_cmp_lt_u64_e64 s2, s[6:7], 2
	s_delay_alu instid0(VALU_DEP_1)
	s_and_b32 vcc_lo, exec_lo, s2
	s_cbranch_vccnz .LBB0_8
; %bb.1:
	s_load_b64 s[2:3], s[0:1], 0x10
	v_mov_b32_e32 v3, 0
	s_add_u32 s14, s12, 8
	v_mov_b32_e32 v4, 0
	s_addc_u32 s15, s13, 0
	s_mov_b64 s[18:19], 1
	s_waitcnt lgkmcnt(0)
	s_add_u32 s16, s2, 8
	s_addc_u32 s17, s3, 0
.LBB0_2:                                ; =>This Inner Loop Header: Depth=1
	s_load_b64 s[20:21], s[16:17], 0x0
                                        ; implicit-def: $vgpr7_vgpr8
	s_mov_b32 s2, exec_lo
	s_waitcnt lgkmcnt(0)
	v_or_b32_e32 v2, s21, v6
	s_delay_alu instid0(VALU_DEP_1)
	v_cmpx_ne_u64_e32 0, v[1:2]
	s_xor_b32 s3, exec_lo, s2
	s_cbranch_execz .LBB0_4
; %bb.3:                                ;   in Loop: Header=BB0_2 Depth=1
	v_cvt_f32_u32_e32 v2, s20
	v_cvt_f32_u32_e32 v7, s21
	s_sub_u32 s2, 0, s20
	s_subb_u32 s22, 0, s21
	s_delay_alu instid0(VALU_DEP_1) | instskip(NEXT) | instid1(VALU_DEP_1)
	v_fmac_f32_e32 v2, 0x4f800000, v7
	v_rcp_f32_e32 v2, v2
	s_waitcnt_depctr 0xfff
	v_mul_f32_e32 v2, 0x5f7ffffc, v2
	s_delay_alu instid0(VALU_DEP_1) | instskip(NEXT) | instid1(VALU_DEP_1)
	v_mul_f32_e32 v7, 0x2f800000, v2
	v_trunc_f32_e32 v7, v7
	s_delay_alu instid0(VALU_DEP_1) | instskip(SKIP_1) | instid1(VALU_DEP_2)
	v_fmac_f32_e32 v2, 0xcf800000, v7
	v_cvt_u32_f32_e32 v7, v7
	v_cvt_u32_f32_e32 v2, v2
	s_delay_alu instid0(VALU_DEP_2) | instskip(NEXT) | instid1(VALU_DEP_2)
	v_mul_lo_u32 v8, s2, v7
	v_mul_hi_u32 v9, s2, v2
	v_mul_lo_u32 v10, s22, v2
	s_delay_alu instid0(VALU_DEP_2) | instskip(SKIP_1) | instid1(VALU_DEP_2)
	v_add_nc_u32_e32 v8, v9, v8
	v_mul_lo_u32 v9, s2, v2
	v_add_nc_u32_e32 v8, v8, v10
	s_delay_alu instid0(VALU_DEP_2) | instskip(NEXT) | instid1(VALU_DEP_2)
	v_mul_hi_u32 v10, v2, v9
	v_mul_lo_u32 v11, v2, v8
	v_mul_hi_u32 v12, v2, v8
	v_mul_hi_u32 v13, v7, v9
	v_mul_lo_u32 v9, v7, v9
	v_mul_hi_u32 v14, v7, v8
	v_mul_lo_u32 v8, v7, v8
	v_add_co_u32 v10, vcc_lo, v10, v11
	v_add_co_ci_u32_e32 v11, vcc_lo, 0, v12, vcc_lo
	s_delay_alu instid0(VALU_DEP_2) | instskip(NEXT) | instid1(VALU_DEP_2)
	v_add_co_u32 v9, vcc_lo, v10, v9
	v_add_co_ci_u32_e32 v9, vcc_lo, v11, v13, vcc_lo
	v_add_co_ci_u32_e32 v10, vcc_lo, 0, v14, vcc_lo
	s_delay_alu instid0(VALU_DEP_2) | instskip(NEXT) | instid1(VALU_DEP_2)
	v_add_co_u32 v8, vcc_lo, v9, v8
	v_add_co_ci_u32_e32 v9, vcc_lo, 0, v10, vcc_lo
	s_delay_alu instid0(VALU_DEP_2) | instskip(NEXT) | instid1(VALU_DEP_2)
	v_add_co_u32 v2, vcc_lo, v2, v8
	v_add_co_ci_u32_e32 v7, vcc_lo, v7, v9, vcc_lo
	s_delay_alu instid0(VALU_DEP_2) | instskip(SKIP_1) | instid1(VALU_DEP_3)
	v_mul_hi_u32 v8, s2, v2
	v_mul_lo_u32 v10, s22, v2
	v_mul_lo_u32 v9, s2, v7
	s_delay_alu instid0(VALU_DEP_1) | instskip(SKIP_1) | instid1(VALU_DEP_2)
	v_add_nc_u32_e32 v8, v8, v9
	v_mul_lo_u32 v9, s2, v2
	v_add_nc_u32_e32 v8, v8, v10
	s_delay_alu instid0(VALU_DEP_2) | instskip(NEXT) | instid1(VALU_DEP_2)
	v_mul_hi_u32 v10, v2, v9
	v_mul_lo_u32 v11, v2, v8
	v_mul_hi_u32 v12, v2, v8
	v_mul_hi_u32 v13, v7, v9
	v_mul_lo_u32 v9, v7, v9
	v_mul_hi_u32 v14, v7, v8
	v_mul_lo_u32 v8, v7, v8
	v_add_co_u32 v10, vcc_lo, v10, v11
	v_add_co_ci_u32_e32 v11, vcc_lo, 0, v12, vcc_lo
	s_delay_alu instid0(VALU_DEP_2) | instskip(NEXT) | instid1(VALU_DEP_2)
	v_add_co_u32 v9, vcc_lo, v10, v9
	v_add_co_ci_u32_e32 v9, vcc_lo, v11, v13, vcc_lo
	v_add_co_ci_u32_e32 v10, vcc_lo, 0, v14, vcc_lo
	s_delay_alu instid0(VALU_DEP_2) | instskip(NEXT) | instid1(VALU_DEP_2)
	v_add_co_u32 v8, vcc_lo, v9, v8
	v_add_co_ci_u32_e32 v9, vcc_lo, 0, v10, vcc_lo
	s_delay_alu instid0(VALU_DEP_2) | instskip(NEXT) | instid1(VALU_DEP_2)
	v_add_co_u32 v2, vcc_lo, v2, v8
	v_add_co_ci_u32_e32 v13, vcc_lo, v7, v9, vcc_lo
	s_delay_alu instid0(VALU_DEP_2) | instskip(SKIP_1) | instid1(VALU_DEP_3)
	v_mul_hi_u32 v14, v5, v2
	v_mad_u64_u32 v[9:10], null, v6, v2, 0
	v_mad_u64_u32 v[7:8], null, v5, v13, 0
	;; [unrolled: 1-line block ×3, first 2 shown]
	s_delay_alu instid0(VALU_DEP_2) | instskip(NEXT) | instid1(VALU_DEP_3)
	v_add_co_u32 v2, vcc_lo, v14, v7
	v_add_co_ci_u32_e32 v7, vcc_lo, 0, v8, vcc_lo
	s_delay_alu instid0(VALU_DEP_2) | instskip(NEXT) | instid1(VALU_DEP_2)
	v_add_co_u32 v2, vcc_lo, v2, v9
	v_add_co_ci_u32_e32 v2, vcc_lo, v7, v10, vcc_lo
	v_add_co_ci_u32_e32 v7, vcc_lo, 0, v12, vcc_lo
	s_delay_alu instid0(VALU_DEP_2) | instskip(NEXT) | instid1(VALU_DEP_2)
	v_add_co_u32 v2, vcc_lo, v2, v11
	v_add_co_ci_u32_e32 v9, vcc_lo, 0, v7, vcc_lo
	s_delay_alu instid0(VALU_DEP_2) | instskip(SKIP_1) | instid1(VALU_DEP_3)
	v_mul_lo_u32 v10, s21, v2
	v_mad_u64_u32 v[7:8], null, s20, v2, 0
	v_mul_lo_u32 v11, s20, v9
	s_delay_alu instid0(VALU_DEP_2) | instskip(NEXT) | instid1(VALU_DEP_2)
	v_sub_co_u32 v7, vcc_lo, v5, v7
	v_add3_u32 v8, v8, v11, v10
	s_delay_alu instid0(VALU_DEP_1) | instskip(NEXT) | instid1(VALU_DEP_1)
	v_sub_nc_u32_e32 v10, v6, v8
	v_subrev_co_ci_u32_e64 v10, s2, s21, v10, vcc_lo
	v_add_co_u32 v11, s2, v2, 2
	s_delay_alu instid0(VALU_DEP_1) | instskip(SKIP_3) | instid1(VALU_DEP_3)
	v_add_co_ci_u32_e64 v12, s2, 0, v9, s2
	v_sub_co_u32 v13, s2, v7, s20
	v_sub_co_ci_u32_e32 v8, vcc_lo, v6, v8, vcc_lo
	v_subrev_co_ci_u32_e64 v10, s2, 0, v10, s2
	v_cmp_le_u32_e32 vcc_lo, s20, v13
	s_delay_alu instid0(VALU_DEP_3) | instskip(SKIP_1) | instid1(VALU_DEP_4)
	v_cmp_eq_u32_e64 s2, s21, v8
	v_cndmask_b32_e64 v13, 0, -1, vcc_lo
	v_cmp_le_u32_e32 vcc_lo, s21, v10
	v_cndmask_b32_e64 v14, 0, -1, vcc_lo
	v_cmp_le_u32_e32 vcc_lo, s20, v7
	;; [unrolled: 2-line block ×3, first 2 shown]
	v_cndmask_b32_e64 v15, 0, -1, vcc_lo
	v_cmp_eq_u32_e32 vcc_lo, s21, v10
	s_delay_alu instid0(VALU_DEP_2) | instskip(SKIP_3) | instid1(VALU_DEP_3)
	v_cndmask_b32_e64 v7, v15, v7, s2
	v_cndmask_b32_e32 v10, v14, v13, vcc_lo
	v_add_co_u32 v13, vcc_lo, v2, 1
	v_add_co_ci_u32_e32 v14, vcc_lo, 0, v9, vcc_lo
	v_cmp_ne_u32_e32 vcc_lo, 0, v10
	s_delay_alu instid0(VALU_DEP_2) | instskip(NEXT) | instid1(VALU_DEP_4)
	v_cndmask_b32_e32 v8, v14, v12, vcc_lo
	v_cndmask_b32_e32 v10, v13, v11, vcc_lo
	v_cmp_ne_u32_e32 vcc_lo, 0, v7
	s_delay_alu instid0(VALU_DEP_2)
	v_dual_cndmask_b32 v7, v2, v10 :: v_dual_cndmask_b32 v8, v9, v8
.LBB0_4:                                ;   in Loop: Header=BB0_2 Depth=1
	s_and_not1_saveexec_b32 s2, s3
	s_cbranch_execz .LBB0_6
; %bb.5:                                ;   in Loop: Header=BB0_2 Depth=1
	v_cvt_f32_u32_e32 v2, s20
	s_sub_i32 s3, 0, s20
	s_delay_alu instid0(VALU_DEP_1) | instskip(SKIP_2) | instid1(VALU_DEP_1)
	v_rcp_iflag_f32_e32 v2, v2
	s_waitcnt_depctr 0xfff
	v_mul_f32_e32 v2, 0x4f7ffffe, v2
	v_cvt_u32_f32_e32 v2, v2
	s_delay_alu instid0(VALU_DEP_1) | instskip(NEXT) | instid1(VALU_DEP_1)
	v_mul_lo_u32 v7, s3, v2
	v_mul_hi_u32 v7, v2, v7
	s_delay_alu instid0(VALU_DEP_1) | instskip(NEXT) | instid1(VALU_DEP_1)
	v_add_nc_u32_e32 v2, v2, v7
	v_mul_hi_u32 v2, v5, v2
	s_delay_alu instid0(VALU_DEP_1) | instskip(SKIP_1) | instid1(VALU_DEP_2)
	v_mul_lo_u32 v7, v2, s20
	v_add_nc_u32_e32 v8, 1, v2
	v_sub_nc_u32_e32 v7, v5, v7
	s_delay_alu instid0(VALU_DEP_1) | instskip(SKIP_1) | instid1(VALU_DEP_2)
	v_subrev_nc_u32_e32 v9, s20, v7
	v_cmp_le_u32_e32 vcc_lo, s20, v7
	v_dual_cndmask_b32 v7, v7, v9 :: v_dual_cndmask_b32 v2, v2, v8
	s_delay_alu instid0(VALU_DEP_1) | instskip(NEXT) | instid1(VALU_DEP_2)
	v_cmp_le_u32_e32 vcc_lo, s20, v7
	v_add_nc_u32_e32 v8, 1, v2
	s_delay_alu instid0(VALU_DEP_1)
	v_dual_cndmask_b32 v7, v2, v8 :: v_dual_mov_b32 v8, v1
.LBB0_6:                                ;   in Loop: Header=BB0_2 Depth=1
	s_or_b32 exec_lo, exec_lo, s2
	s_load_b64 s[2:3], s[14:15], 0x0
	s_delay_alu instid0(VALU_DEP_1) | instskip(NEXT) | instid1(VALU_DEP_2)
	v_mul_lo_u32 v2, v8, s20
	v_mul_lo_u32 v11, v7, s21
	v_mad_u64_u32 v[9:10], null, v7, s20, 0
	s_add_u32 s18, s18, 1
	s_addc_u32 s19, s19, 0
	s_add_u32 s14, s14, 8
	s_addc_u32 s15, s15, 0
	;; [unrolled: 2-line block ×3, first 2 shown]
	s_delay_alu instid0(VALU_DEP_1) | instskip(SKIP_1) | instid1(VALU_DEP_2)
	v_add3_u32 v2, v10, v11, v2
	v_sub_co_u32 v9, vcc_lo, v5, v9
	v_sub_co_ci_u32_e32 v2, vcc_lo, v6, v2, vcc_lo
	s_waitcnt lgkmcnt(0)
	s_delay_alu instid0(VALU_DEP_2) | instskip(NEXT) | instid1(VALU_DEP_2)
	v_mul_lo_u32 v10, s3, v9
	v_mul_lo_u32 v2, s2, v2
	v_mad_u64_u32 v[5:6], null, s2, v9, v[3:4]
	v_cmp_ge_u64_e64 s2, s[18:19], s[6:7]
	s_delay_alu instid0(VALU_DEP_1) | instskip(NEXT) | instid1(VALU_DEP_2)
	s_and_b32 vcc_lo, exec_lo, s2
	v_add3_u32 v4, v10, v6, v2
	s_delay_alu instid0(VALU_DEP_3)
	v_mov_b32_e32 v3, v5
	s_cbranch_vccnz .LBB0_9
; %bb.7:                                ;   in Loop: Header=BB0_2 Depth=1
	v_dual_mov_b32 v5, v7 :: v_dual_mov_b32 v6, v8
	s_branch .LBB0_2
.LBB0_8:
	v_dual_mov_b32 v8, v6 :: v_dual_mov_b32 v7, v5
.LBB0_9:
	s_lshl_b64 s[2:3], s[6:7], 3
	v_mul_hi_u32 v1, 0x1948b10, v0
	s_add_u32 s2, s12, s2
	s_addc_u32 s3, s13, s3
	s_load_b64 s[2:3], s[2:3], 0x0
	s_load_b64 s[0:1], s[0:1], 0x20
	s_delay_alu instid0(VALU_DEP_1)
	v_mul_u32_u24_e32 v5, 0xa2, v1
	s_waitcnt lgkmcnt(0)
	v_mul_lo_u32 v9, s2, v8
	v_mul_lo_u32 v10, s3, v7
	v_mad_u64_u32 v[1:2], null, s2, v7, v[3:4]
	v_sub_nc_u32_e32 v4, v0, v5
	v_cmp_gt_u64_e32 vcc_lo, s[0:1], v[7:8]
	v_cmp_le_u64_e64 s0, s[0:1], v[7:8]
                                        ; implicit-def: $vgpr8
                                        ; implicit-def: $vgpr3
                                        ; implicit-def: $vgpr5
	s_delay_alu instid0(VALU_DEP_3) | instskip(SKIP_2) | instid1(VALU_DEP_4)
	v_add_nc_u32_e32 v6, 0xa2, v4
	v_add3_u32 v2, v10, v2, v9
	v_add_nc_u32_e32 v7, 0x144, v4
	s_and_saveexec_b32 s1, s0
	s_delay_alu instid0(SALU_CYCLE_1)
	s_xor_b32 s0, exec_lo, s1
; %bb.10:
	v_add_nc_u32_e32 v8, 0xa2, v4
	v_add_nc_u32_e32 v3, 0x144, v4
	;; [unrolled: 1-line block ×3, first 2 shown]
; %bb.11:
	s_or_saveexec_b32 s1, s0
	v_lshlrev_b64 v[0:1], 2, v[1:2]
                                        ; implicit-def: $vgpr19
                                        ; implicit-def: $vgpr32
                                        ; implicit-def: $vgpr21
                                        ; implicit-def: $vgpr22
                                        ; implicit-def: $vgpr23
                                        ; implicit-def: $vgpr20
                                        ; implicit-def: $vgpr24
                                        ; implicit-def: $vgpr12
                                        ; implicit-def: $vgpr18
                                        ; implicit-def: $vgpr2
                                        ; implicit-def: $vgpr11
                                        ; implicit-def: $vgpr9
                                        ; implicit-def: $vgpr14
                                        ; implicit-def: $vgpr13
                                        ; implicit-def: $vgpr10
	s_xor_b32 exec_lo, exec_lo, s1
	s_cbranch_execz .LBB0_13
; %bb.12:
	v_mad_u64_u32 v[2:3], null, s8, v4, 0
	v_mad_u64_u32 v[10:11], null, s8, v7, 0
	;; [unrolled: 1-line block ×3, first 2 shown]
	v_add_nc_u32_e32 v5, 0x1e6, v4
	v_add_co_u32 v29, s0, s10, v0
	v_mad_u64_u32 v[12:13], null, s9, v4, v[3:4]
	v_mov_b32_e32 v3, v11
	v_mad_u64_u32 v[13:14], null, s9, v6, v[9:10]
	v_add_co_ci_u32_e64 v30, s0, s11, v1, s0
	s_delay_alu instid0(VALU_DEP_3) | instskip(SKIP_1) | instid1(VALU_DEP_4)
	v_mad_u64_u32 v[14:15], null, s9, v7, v[3:4]
	v_dual_mov_b32 v3, v12 :: v_dual_add_nc_u32 v20, 0x3cc, v4
	v_mov_b32_e32 v9, v13
	v_add_nc_u32_e32 v19, 0x288, v4
	v_mad_u64_u32 v[15:16], null, s8, v5, 0
	s_delay_alu instid0(VALU_DEP_4)
	v_lshlrev_b64 v[2:3], 2, v[2:3]
	v_mov_b32_e32 v11, v14
	v_lshlrev_b64 v[8:9], 2, v[8:9]
	v_mad_u64_u32 v[13:14], null, s8, v19, 0
	v_add_nc_u32_e32 v27, 0x32a, v4
	v_add_co_u32 v2, s0, v29, v2
	v_lshlrev_b64 v[10:11], 2, v[10:11]
	v_add_co_ci_u32_e64 v3, s0, v30, v3, s0
	v_add_co_u32 v8, s0, v29, v8
	s_delay_alu instid0(VALU_DEP_1) | instskip(NEXT) | instid1(VALU_DEP_4)
	v_add_co_ci_u32_e64 v9, s0, v30, v9, s0
	v_add_co_u32 v10, s0, v29, v10
	v_mov_b32_e32 v12, v16
	v_add_co_ci_u32_e64 v11, s0, v30, v11, s0
	global_load_b32 v2, v[2:3], off
	v_add_nc_u32_e32 v31, 0x46e, v4
	v_mad_u64_u32 v[16:17], null, s9, v5, v[12:13]
	global_load_b32 v12, v[10:11], off
	v_mov_b32_e32 v3, v14
	v_mad_u64_u32 v[25:26], null, s8, v31, 0
	s_delay_alu instid0(VALU_DEP_2) | instskip(SKIP_3) | instid1(VALU_DEP_4)
	v_mad_u64_u32 v[17:18], null, s9, v19, v[3:4]
	v_lshlrev_b64 v[10:11], 2, v[15:16]
	v_mad_u64_u32 v[15:16], null, s8, v20, 0
	v_mad_u64_u32 v[18:19], null, s8, v27, 0
	v_mov_b32_e32 v14, v17
	s_delay_alu instid0(VALU_DEP_4) | instskip(NEXT) | instid1(VALU_DEP_1)
	v_add_co_u32 v23, s0, v29, v10
	v_add_co_ci_u32_e64 v24, s0, v30, v11, s0
	s_delay_alu instid0(VALU_DEP_3) | instskip(SKIP_2) | instid1(VALU_DEP_2)
	v_lshlrev_b64 v[10:11], 2, v[13:14]
	v_dual_mov_b32 v3, v16 :: v_dual_add_nc_u32 v14, 0x510, v4
	v_mov_b32_e32 v13, v19
	v_mad_u64_u32 v[21:22], null, s8, v14, 0
	s_delay_alu instid0(VALU_DEP_3)
	v_mad_u64_u32 v[16:17], null, s9, v20, v[3:4]
	v_add_nc_u32_e32 v17, 0x5b2, v4
	v_add_co_u32 v10, s0, v29, v10
	v_mad_u64_u32 v[19:20], null, s9, v27, v[13:14]
	v_mov_b32_e32 v3, v22
	v_mov_b32_e32 v13, v26
	v_add_co_ci_u32_e64 v11, s0, v30, v11, s0
	s_delay_alu instid0(VALU_DEP_3)
	v_mad_u64_u32 v[26:27], null, s9, v14, v[3:4]
	v_mad_u64_u32 v[27:28], null, s8, v17, 0
	global_load_b32 v20, v[10:11], off
	v_lshlrev_b64 v[10:11], 2, v[15:16]
	v_mad_u64_u32 v[14:15], null, s9, v31, v[13:14]
	v_mov_b32_e32 v22, v26
	v_lshlrev_b64 v[15:16], 2, v[18:19]
	v_mov_b32_e32 v3, v28
	v_add_co_u32 v10, s0, v29, v10
	s_delay_alu instid0(VALU_DEP_1) | instskip(SKIP_1) | instid1(VALU_DEP_4)
	v_add_co_ci_u32_e64 v11, s0, v30, v11, s0
	v_mov_b32_e32 v26, v14
	v_mad_u64_u32 v[13:14], null, s9, v17, v[3:4]
	v_lshlrev_b64 v[17:18], 2, v[21:22]
	v_add_co_u32 v14, s0, v29, v15
	s_delay_alu instid0(VALU_DEP_1) | instskip(SKIP_2) | instid1(VALU_DEP_1)
	v_add_co_ci_u32_e64 v15, s0, v30, v16, s0
	global_load_b32 v22, v[10:11], off
	v_add_co_u32 v16, s0, v29, v17
	v_add_co_ci_u32_e64 v17, s0, v30, v18, s0
	v_dual_mov_b32 v28, v13 :: v_dual_mov_b32 v3, v7
	global_load_b32 v32, v[16:17], off
	v_lshlrev_b64 v[10:11], 2, v[25:26]
	v_lshlrev_b64 v[18:19], 2, v[27:28]
	s_delay_alu instid0(VALU_DEP_2) | instskip(NEXT) | instid1(VALU_DEP_1)
	v_add_co_u32 v10, s0, v29, v10
	v_add_co_ci_u32_e64 v11, s0, v30, v11, s0
	s_delay_alu instid0(VALU_DEP_3) | instskip(NEXT) | instid1(VALU_DEP_1)
	v_add_co_u32 v16, s0, v29, v18
	v_add_co_ci_u32_e64 v17, s0, v30, v19, s0
	s_clause 0x4
	global_load_b32 v11, v[10:11], off
	global_load_b32 v14, v[14:15], off
	;; [unrolled: 1-line block ×5, first 2 shown]
	v_mov_b32_e32 v8, v6
	s_waitcnt vmcnt(9)
	v_lshrrev_b32_e32 v18, 16, v2
	s_waitcnt vmcnt(8)
	v_lshrrev_b32_e32 v24, 16, v12
	;; [unrolled: 2-line block ×5, first 2 shown]
.LBB0_13:
	s_or_b32 exec_lo, exec_lo, s1
	v_add_f16_e32 v15, v22, v20
	v_sub_f16_e32 v26, v12, v20
	v_sub_f16_e32 v27, v32, v22
	;; [unrolled: 1-line block ×3, first 2 shown]
	s_waitcnt vmcnt(2)
	v_pk_add_f16 v29, v13, v14 neg_lo:[0,1] neg_hi:[0,1]
	v_fma_f16 v15, -0.5, v15, v2
	v_sub_f16_e32 v25, v23, v21
	v_add_f16_e32 v26, v27, v26
	s_waitcnt vmcnt(0)
	v_pk_add_f16 v27, v9, v11 neg_lo:[0,1] neg_hi:[0,1]
	v_pk_add_f16 v41, v14, v11 neg_lo:[0,1] neg_hi:[0,1]
	v_fmamk_f16 v30, v17, 0x3b9c, v15
	v_fmac_f16_e32 v15, 0xbb9c, v17
	v_add_f16_e32 v28, v32, v12
	v_pk_add_f16 v27, v27, v29
	v_sub_f16_e32 v31, v20, v12
	v_fmac_f16_e32 v30, 0x38b4, v25
	v_fmac_f16_e32 v15, 0xb8b4, v25
	v_sub_f16_e32 v29, v22, v32
	v_add_f16_e32 v33, v11, v14
	v_pk_add_f16 v42, v13, v9 neg_lo:[0,1] neg_hi:[0,1]
	v_bfi_b32 v27, 0xffff, v27, v41
	v_add_f16_e32 v16, v12, v2
	v_fmac_f16_e32 v2, -0.5, v28
	v_fmac_f16_e32 v30, 0x34f2, v26
	v_add_f16_e32 v29, v29, v31
	v_fmac_f16_e32 v15, 0x34f2, v26
	v_fma_f16 v26, -0.5, v33, v10
	v_lshrrev_b32_e32 v31, 16, v42
	v_pk_mul_f16 v27, 0x38b434f2, v27
	v_fmamk_f16 v28, v25, 0xbb9c, v2
	v_fmac_f16_e32 v2, 0x3b9c, v25
	v_add_f16_e32 v25, v13, v10
	v_fmamk_f16 v33, v31, 0x3b9c, v26
	v_lshrrev_b32_e32 v35, 16, v27
	v_fmac_f16_e32 v28, 0x38b4, v17
	v_fmac_f16_e32 v2, 0xb8b4, v17
	v_add_f16_e32 v17, v14, v25
	v_fmac_f16_e32 v26, 0xbb9c, v31
	v_add_f16_e32 v25, v35, v33
	v_lshrrev_b32_e32 v36, 16, v14
	v_lshrrev_b32_e32 v34, 16, v11
	;; [unrolled: 1-line block ×3, first 2 shown]
	v_pk_add_f16 v14, v14, v13 neg_lo:[0,1] neg_hi:[0,1]
	v_add_f16_e32 v37, v27, v25
	v_sub_f16_e32 v25, v26, v35
	v_pk_add_f16 v26, v9, v13
	v_add_f16_e32 v33, v34, v36
	v_lshrrev_b32_e32 v40, 16, v13
	v_pk_mul_f16 v13, 0x3b9c, v41 op_sel_hi:[0,1]
	v_add_f16_e32 v17, v11, v17
	v_pk_fma_f16 v10, v26, -0.5, v10 op_sel_hi:[1,0,1]
	v_fma_f16 v33, -0.5, v33, v39
	v_pk_add_f16 v11, v11, v9 neg_lo:[0,1] neg_hi:[0,1]
	v_lshrrev_b32_e32 v38, 16, v9
	v_pk_mul_f16 v31, 0x38b4, v42 op_sel_hi:[0,1]
	v_pk_add_f16 v43, v10, v13 op_sel:[0,1] op_sel_hi:[1,0] neg_lo:[0,1] neg_hi:[0,1]
	v_pk_add_f16 v10, v13, v10 op_sel:[1,0] op_sel_hi:[0,1]
	v_fmac_f16_e32 v28, 0x34f2, v29
	v_fmac_f16_e32 v2, 0x34f2, v29
	v_fmamk_f16 v35, v42, 0xbb9c, v33
	v_sub_f16_e32 v26, v40, v36
	v_sub_f16_e32 v29, v38, v34
	v_fmac_f16_e32 v33, 0x3b9c, v42
	v_pk_add_f16 v11, v11, v14
	v_pk_add_f16 v14, v31, v43 op_sel:[1,0] op_sel_hi:[0,1]
	v_pk_add_f16 v10, v10, v31 op_sel:[0,1] op_sel_hi:[1,0] neg_lo:[0,1] neg_hi:[0,1]
	v_add_f16_e32 v16, v20, v16
	v_fmac_f16_e32 v35, 0xb8b4, v41
	v_add_f16_e32 v13, v29, v26
	v_fmac_f16_e32 v33, 0x38b4, v41
	v_pk_fma_f16 v44, 0x34f2, v11, v14 op_sel_hi:[0,1,1]
	v_pk_fma_f16 v42, 0x34f2, v11, v10 op_sel_hi:[0,1,1]
	v_add_f16_e32 v41, v27, v25
	v_add_f16_e32 v16, v22, v16
	v_fmac_f16_e32 v35, 0x34f2, v13
	v_fmac_f16_e32 v33, 0x34f2, v13
	v_mul_f16_e32 v10, 0x3a79, v37
	v_mul_f16_e32 v13, 0x34f2, v44
	v_lshrrev_b32_e32 v14, 16, v42
	v_mul_f16_e32 v25, 0x34f2, v42
	v_lshrrev_b32_e32 v26, 16, v44
	v_mul_f16_e32 v11, 0x3a79, v41
	v_add_f16_e32 v16, v32, v16
	v_add_f16_e32 v9, v9, v17
	v_fmac_f16_e32 v10, 0x38b4, v35
	v_fmac_f16_e32 v13, 0x3b9c, v14
	v_fma_f16 v14, v26, 0x3b9c, -v25
	v_fma_f16 v11, v33, 0x38b4, -v11
	v_add_f16_e32 v17, v9, v16
	v_add_f16_e32 v25, v30, v10
	;; [unrolled: 1-line block ×4, first 2 shown]
	v_sub_f16_e32 v9, v16, v9
	v_mul_u32_u24_e32 v16, 10, v4
	v_add_f16_e32 v26, v15, v11
	v_sub_f16_e32 v10, v30, v10
	v_sub_f16_e32 v13, v28, v13
	;; [unrolled: 1-line block ×4, first 2 shown]
	v_lshl_add_u32 v43, v16, 1, 0
	v_pack_b32_f16 v11, v27, v29
	v_pack_b32_f16 v15, v17, v25
	;; [unrolled: 1-line block ×5, first 2 shown]
	ds_store_2addr_b32 v43, v15, v11 offset1:1
	ds_store_2addr_b32 v43, v9, v10 offset0:2 offset1:3
	ds_store_b32 v43, v2 offset:16
	v_mad_i32_i24 v2, 0xffffffee, v4, v43
	v_lshl_add_u32 v11, v3, 1, 0
	s_waitcnt lgkmcnt(0)
	s_barrier
	buffer_gl0_inv
	v_lshl_add_u32 v9, v8, 1, 0
	ds_load_u16 v16, v2
	ds_load_u16 v27, v2 offset:1080
	ds_load_u16 v26, v2 offset:1404
	;; [unrolled: 1-line block ×3, first 2 shown]
	ds_load_u16 v15, v11
	ds_load_u16 v17, v9
	ds_load_u16 v25, v2 offset:2808
	ds_load_u16 v31, v2 offset:2160
	;; [unrolled: 1-line block ×3, first 2 shown]
	v_cmp_gt_u32_e64 s0, 54, v4
	v_lshl_add_u32 v10, v5, 1, 0
                                        ; implicit-def: $vgpr29
                                        ; implicit-def: $vgpr30
	s_delay_alu instid0(VALU_DEP_2)
	s_and_saveexec_b32 s1, s0
	s_cbranch_execz .LBB0_15
; %bb.14:
	ds_load_u16 v30, v2 offset:2052
	ds_load_u16 v14, v10
	ds_load_u16 v29, v2 offset:3132
.LBB0_15:
	s_or_b32 exec_lo, exec_lo, s1
	v_add_f16_e32 v45, v21, v23
	v_add_f16_e32 v46, v24, v18
	v_add_f16_e32 v47, v19, v24
	v_sub_f16_e32 v12, v12, v32
	v_sub_f16_e32 v20, v20, v22
	;; [unrolled: 1-line block ×3, first 2 shown]
	v_fma_f16 v32, -0.5, v45, v18
	v_sub_f16_e32 v24, v23, v24
	v_add_f16_e32 v23, v23, v46
	v_fmac_f16_e32 v18, -0.5, v47
	v_sub_f16_e32 v45, v19, v21
	v_sub_f16_e32 v48, v21, v19
	v_fmamk_f16 v46, v12, 0xbb9c, v32
	v_add_f16_e32 v21, v21, v23
	v_add_f16_e32 v23, v40, v39
	v_fmamk_f16 v39, v20, 0x3b9c, v18
	v_fmac_f16_e32 v18, 0xbb9c, v20
	v_fmac_f16_e32 v32, 0x3b9c, v12
	v_add_f16_e32 v19, v19, v21
	v_add_f16_e32 v21, v36, v23
	v_fmac_f16_e32 v39, 0xb8b4, v12
	v_add_f16_e32 v23, v48, v24
	v_fmac_f16_e32 v18, 0x38b4, v12
	;; [unrolled: 2-line block ×3, first 2 shown]
	v_fmac_f16_e32 v32, 0x38b4, v20
	v_add_f16_e32 v12, v34, v21
	v_mul_f16_e32 v20, 0xb8b4, v37
	v_mul_f16_e32 v21, 0x34f2, v23
	v_pack_b32_f16 v18, v18, v39
	v_pk_mul_f16 v23, 0x34f23b9c, v44
	v_mul_f16_e32 v24, 0x3a79, v33
	v_fmac_f16_e32 v46, 0x34f2, v22
	v_add_f16_e32 v12, v38, v12
	v_fmac_f16_e32 v20, 0x3a79, v35
	v_pk_add_f16 v18, v21, v18 op_sel_hi:[0,1]
	v_pk_fma_f16 v21, 0x34f2bb9c, v42, v23 op_sel:[0,0,1] op_sel_hi:[1,1,0] neg_lo:[0,0,1] neg_hi:[0,0,1]
	v_fmac_f16_e32 v32, 0x34f2, v22
	v_fma_f16 v23, v41, 0xb8b4, -v24
	v_add_f16_e32 v22, v12, v19
	v_bfi_b32 v24, 0xffff, v46, v18
	v_bfi_b32 v33, 0xffff, v20, v21
	v_add_f16_e32 v20, v46, v20
	v_pk_add_f16 v34, v18, v21
	v_add_f16_e32 v35, v32, v23
	v_sub_f16_e32 v12, v19, v12
	v_sub_f16_e32 v21, v18, v21
	;; [unrolled: 1-line block ×3, first 2 shown]
	v_alignbit_b32 v23, v34, v34, 16
	v_pack_b32_f16 v20, v22, v20
	v_pk_add_f16 v19, v24, v33 neg_lo:[0,1] neg_hi:[0,1]
	v_pack_b32_f16 v12, v35, v12
	v_pack_b32_f16 v21, v21, v18
	s_waitcnt lgkmcnt(0)
	s_barrier
	buffer_gl0_inv
	ds_store_2addr_b32 v43, v20, v23 offset1:1
	ds_store_2addr_b32 v43, v12, v19 offset0:2 offset1:3
	ds_store_b32 v43, v21 offset:16
	s_waitcnt lgkmcnt(0)
	s_barrier
	buffer_gl0_inv
	ds_load_u16 v22, v2
	ds_load_u16 v35, v2 offset:1080
	ds_load_u16 v34, v2 offset:1404
	;; [unrolled: 1-line block ×3, first 2 shown]
	ds_load_u16 v23, v11
	ds_load_u16 v24, v9
	ds_load_u16 v33, v2 offset:2808
	ds_load_u16 v39, v2 offset:2160
	;; [unrolled: 1-line block ×3, first 2 shown]
                                        ; implicit-def: $vgpr36
                                        ; implicit-def: $vgpr38
	s_and_saveexec_b32 s1, s0
	s_cbranch_execz .LBB0_17
; %bb.16:
	ds_load_u16 v38, v2 offset:2052
	ds_load_u16 v18, v10
	ds_load_u16 v36, v2 offset:3132
.LBB0_17:
	s_or_b32 exec_lo, exec_lo, s1
	v_and_b32_e32 v19, 0xff, v4
	v_and_b32_e32 v12, 0xffff, v8
	;; [unrolled: 1-line block ×4, first 2 shown]
	s_delay_alu instid0(VALU_DEP_4) | instskip(NEXT) | instid1(VALU_DEP_4)
	v_mul_lo_u16 v40, 0xcd, v19
	v_mul_u32_u24_e32 v41, 0xcccd, v12
	s_delay_alu instid0(VALU_DEP_4) | instskip(NEXT) | instid1(VALU_DEP_4)
	v_mul_u32_u24_e32 v42, 0xcccd, v20
	v_mul_u32_u24_e32 v43, 0xcccd, v21
	s_delay_alu instid0(VALU_DEP_4) | instskip(NEXT) | instid1(VALU_DEP_4)
	v_lshrrev_b16 v40, 11, v40
	v_lshrrev_b32_e32 v41, 19, v41
	s_delay_alu instid0(VALU_DEP_4) | instskip(NEXT) | instid1(VALU_DEP_4)
	v_lshrrev_b32_e32 v42, 19, v42
	v_lshrrev_b32_e32 v43, 19, v43
	s_delay_alu instid0(VALU_DEP_4) | instskip(NEXT) | instid1(VALU_DEP_4)
	v_mul_lo_u16 v44, v40, 10
	v_mul_lo_u16 v45, v41, 10
	s_delay_alu instid0(VALU_DEP_4) | instskip(NEXT) | instid1(VALU_DEP_4)
	v_mul_lo_u16 v46, v42, 10
	v_mul_lo_u16 v47, v43, 10
	v_mul_u32_u24_e32 v42, 60, v42
	v_sub_nc_u16 v44, v4, v44
	v_sub_nc_u16 v45, v8, v45
	v_sub_nc_u16 v46, v3, v46
	v_sub_nc_u16 v47, v5, v47
	s_delay_alu instid0(VALU_DEP_4) | instskip(NEXT) | instid1(VALU_DEP_4)
	v_and_b32_e32 v44, 0xff, v44
	v_and_b32_e32 v45, 0xffff, v45
	s_delay_alu instid0(VALU_DEP_4) | instskip(NEXT) | instid1(VALU_DEP_4)
	v_and_b32_e32 v46, 0xffff, v46
	v_and_b32_e32 v47, 0xffff, v47
	s_delay_alu instid0(VALU_DEP_4) | instskip(NEXT) | instid1(VALU_DEP_4)
	v_lshlrev_b32_e32 v48, 3, v44
	v_lshlrev_b32_e32 v49, 3, v45
	s_delay_alu instid0(VALU_DEP_4)
	v_lshlrev_b32_e32 v50, 3, v46
	v_lshlrev_b32_e32 v44, 1, v44
	;; [unrolled: 1-line block ×3, first 2 shown]
	global_load_b64 v[55:56], v48, s[4:5]
	v_lshlrev_b32_e32 v48, 3, v47
	v_lshlrev_b32_e32 v46, 1, v46
	s_clause 0x2
	global_load_b64 v[57:58], v49, s[4:5]
	global_load_b64 v[59:60], v50, s[4:5]
	;; [unrolled: 1-line block ×3, first 2 shown]
	v_and_b32_e32 v48, 0xffff, v40
	v_mul_u32_u24_e32 v49, 60, v41
	v_mul_lo_u16 v40, v43, 30
	v_add3_u32 v42, 0, v42, v46
	v_lshlrev_b32_e32 v41, 1, v47
	v_mul_u32_u24_e32 v43, 60, v48
	s_waitcnt vmcnt(0) lgkmcnt(0)
	s_barrier
	buffer_gl0_inv
	v_add3_u32 v44, 0, v43, v44
	v_add3_u32 v43, 0, v49, v45
	v_lshrrev_b32_e32 v45, 16, v55
	v_lshrrev_b32_e32 v46, 16, v56
	;; [unrolled: 1-line block ×8, first 2 shown]
	v_mul_f16_e32 v52, v27, v45
	v_mul_f16_e32 v68, v32, v48
	;; [unrolled: 1-line block ×15, first 2 shown]
	v_fmac_f16_e32 v52, v35, v55
	v_fma_f16 v35, v30, v61, -v71
	v_fmac_f16_e32 v48, v38, v61
	v_fma_f16 v38, v29, v62, -v63
	v_mul_f16_e32 v45, v25, v54
	v_fma_f16 v54, v27, v55, -v65
	v_fma_f16 v55, v31, v56, -v66
	v_fmac_f16_e32 v49, v39, v56
	v_fma_f16 v39, v26, v57, -v67
	v_fma_f16 v53, v13, v58, -v68
	v_fmac_f16_e32 v51, v34, v57
	v_fma_f16 v34, v28, v59, -v69
	v_fmac_f16_e32 v47, v37, v59
	;; [unrolled: 2-line block ×3, first 2 shown]
	v_add_f16_e32 v36, v35, v38
	v_add_f16_e32 v25, v54, v55
	v_fmac_f16_e32 v50, v32, v58
	v_add_f16_e32 v28, v39, v53
	v_fmac_f16_e32 v45, v33, v60
	v_add_f16_e32 v13, v16, v54
	v_add_f16_e32 v27, v17, v39
	v_add_f16_e32 v31, v34, v37
	v_add_f16_e32 v33, v14, v35
	v_sub_f16_e32 v56, v48, v46
	v_fmac_f16_e32 v14, -0.5, v36
	v_sub_f16_e32 v26, v52, v49
	v_add_f16_e32 v30, v15, v34
	v_fmac_f16_e32 v16, -0.5, v25
	v_sub_f16_e32 v29, v51, v50
	v_fmac_f16_e32 v17, -0.5, v28
	v_sub_f16_e32 v32, v47, v45
	v_add_f16_e32 v57, v13, v55
	v_add_f16_e32 v25, v27, v53
	v_fmac_f16_e32 v15, -0.5, v31
	v_add_f16_e32 v13, v33, v38
	v_fmamk_f16 v27, v56, 0x3aee, v14
	v_fmac_f16_e32 v14, 0xbaee, v56
	v_add_f16_e32 v28, v30, v37
	v_fmamk_f16 v30, v26, 0x3aee, v16
	v_fmac_f16_e32 v16, 0xbaee, v26
	v_fmamk_f16 v26, v29, 0x3aee, v17
	v_fmac_f16_e32 v17, 0xbaee, v29
	;; [unrolled: 2-line block ×3, first 2 shown]
	ds_store_b16 v44, v57
	ds_store_b16 v44, v30 offset:20
	ds_store_b16 v44, v16 offset:40
	ds_store_b16 v43, v25
	ds_store_b16 v43, v26 offset:20
	ds_store_b16 v43, v17 offset:40
	;; [unrolled: 3-line block ×3, first 2 shown]
	s_and_saveexec_b32 s1, s0
	s_cbranch_execz .LBB0_19
; %bb.18:
	v_and_b32_e32 v15, 0xffff, v40
	s_delay_alu instid0(VALU_DEP_1) | instskip(NEXT) | instid1(VALU_DEP_1)
	v_lshlrev_b32_e32 v15, 1, v15
	v_add3_u32 v15, 0, v41, v15
	ds_store_b16 v15, v13
	ds_store_b16 v15, v27 offset:20
	ds_store_b16 v15, v14 offset:40
.LBB0_19:
	s_or_b32 exec_lo, exec_lo, s1
	s_waitcnt lgkmcnt(0)
	s_barrier
	buffer_gl0_inv
	ds_load_u16 v25, v2
	ds_load_u16 v31, v2 offset:1080
	ds_load_u16 v30, v2 offset:1404
	;; [unrolled: 1-line block ×3, first 2 shown]
	ds_load_u16 v15, v11
	ds_load_u16 v26, v9
	ds_load_u16 v29, v2 offset:2808
	ds_load_u16 v33, v2 offset:2160
	;; [unrolled: 1-line block ×3, first 2 shown]
	s_and_saveexec_b32 s1, s0
	s_cbranch_execz .LBB0_21
; %bb.20:
	ds_load_u16 v27, v2 offset:2052
	ds_load_u16 v13, v10
	ds_load_u16 v14, v2 offset:3132
.LBB0_21:
	s_or_b32 exec_lo, exec_lo, s1
	v_add_f16_e32 v16, v52, v49
	v_add_f16_e32 v17, v22, v52
	;; [unrolled: 1-line block ×3, first 2 shown]
	v_sub_f16_e32 v36, v54, v55
	v_sub_f16_e32 v39, v39, v53
	v_fmac_f16_e32 v22, -0.5, v16
	v_add_f16_e32 v16, v24, v51
	v_fmac_f16_e32 v24, -0.5, v52
	v_add_f16_e32 v17, v17, v49
	v_sub_f16_e32 v35, v35, v38
	v_fmamk_f16 v49, v36, 0xbaee, v22
	v_fmac_f16_e32 v22, 0x3aee, v36
	v_add_f16_e32 v36, v16, v50
	v_add_f16_e32 v16, v47, v45
	v_fmamk_f16 v50, v39, 0xbaee, v24
	v_fmac_f16_e32 v24, 0x3aee, v39
	v_add_f16_e32 v39, v48, v46
	v_add_f16_e32 v47, v23, v47
	v_fmac_f16_e32 v23, -0.5, v16
	v_sub_f16_e32 v16, v34, v37
	v_add_f16_e32 v34, v18, v48
	v_fmac_f16_e32 v18, -0.5, v39
	v_add_f16_e32 v37, v47, v45
	s_waitcnt lgkmcnt(0)
	v_fmamk_f16 v38, v16, 0xbaee, v23
	v_fmac_f16_e32 v23, 0x3aee, v16
	v_add_f16_e32 v16, v34, v46
	v_fmamk_f16 v34, v35, 0xbaee, v18
	v_fmac_f16_e32 v18, 0x3aee, v35
	s_barrier
	buffer_gl0_inv
	ds_store_b16 v44, v17
	ds_store_b16 v44, v49 offset:20
	ds_store_b16 v44, v22 offset:40
	ds_store_b16 v43, v36
	ds_store_b16 v43, v50 offset:20
	ds_store_b16 v43, v24 offset:40
	;; [unrolled: 3-line block ×3, first 2 shown]
	s_and_saveexec_b32 s1, s0
	s_cbranch_execz .LBB0_23
; %bb.22:
	v_and_b32_e32 v17, 0xffff, v40
	s_delay_alu instid0(VALU_DEP_1) | instskip(NEXT) | instid1(VALU_DEP_1)
	v_lshlrev_b32_e32 v17, 1, v17
	v_add3_u32 v17, 0, v41, v17
	ds_store_b16 v17, v16
	ds_store_b16 v17, v34 offset:20
	ds_store_b16 v17, v18 offset:40
.LBB0_23:
	s_or_b32 exec_lo, exec_lo, s1
	s_waitcnt lgkmcnt(0)
	s_barrier
	buffer_gl0_inv
	ds_load_u16 v23, v2
	ds_load_u16 v37, v2 offset:1080
	ds_load_u16 v36, v2 offset:1404
	;; [unrolled: 1-line block ×3, first 2 shown]
	ds_load_u16 v17, v11
	ds_load_u16 v24, v9
	ds_load_u16 v35, v2 offset:2808
	ds_load_u16 v41, v2 offset:2160
	ds_load_u16 v38, v2 offset:1728
	s_and_saveexec_b32 s1, s0
	s_cbranch_execz .LBB0_25
; %bb.24:
	ds_load_u16 v34, v2 offset:2052
	ds_load_u16 v16, v10
	ds_load_u16 v18, v2 offset:3132
.LBB0_25:
	s_or_b32 exec_lo, exec_lo, s1
	v_mul_lo_u16 v19, 0x89, v19
	v_mul_u32_u24_e32 v39, 0x8889, v12
	v_mul_u32_u24_e32 v20, 0x8889, v20
	;; [unrolled: 1-line block ×3, first 2 shown]
	s_delay_alu instid0(VALU_DEP_4) | instskip(NEXT) | instid1(VALU_DEP_4)
	v_lshrrev_b16 v19, 12, v19
	v_lshrrev_b32_e32 v39, 20, v39
	s_delay_alu instid0(VALU_DEP_4) | instskip(NEXT) | instid1(VALU_DEP_4)
	v_lshrrev_b32_e32 v40, 20, v20
	v_lshrrev_b32_e32 v42, 20, v21
	s_delay_alu instid0(VALU_DEP_4) | instskip(NEXT) | instid1(VALU_DEP_4)
	v_mul_lo_u16 v20, v19, 30
	v_mul_lo_u16 v21, v39, 30
	s_delay_alu instid0(VALU_DEP_4) | instskip(NEXT) | instid1(VALU_DEP_4)
	v_mul_lo_u16 v43, v40, 30
	v_mul_lo_u16 v44, v42, 30
	v_and_b32_e32 v19, 0xffff, v19
	v_sub_nc_u16 v20, v4, v20
	v_sub_nc_u16 v21, v8, v21
	v_sub_nc_u16 v43, v3, v43
	s_delay_alu instid0(VALU_DEP_4) | instskip(NEXT) | instid1(VALU_DEP_4)
	v_mul_u32_u24_e32 v19, 0xb4, v19
	v_and_b32_e32 v45, 0xff, v20
	v_sub_nc_u16 v20, v5, v44
	v_and_b32_e32 v44, 0xffff, v21
	v_and_b32_e32 v43, 0xffff, v43
	s_delay_alu instid0(VALU_DEP_4) | instskip(NEXT) | instid1(VALU_DEP_4)
	v_lshlrev_b32_e32 v21, 3, v45
	v_and_b32_e32 v46, 0xffff, v20
	s_delay_alu instid0(VALU_DEP_4) | instskip(NEXT) | instid1(VALU_DEP_4)
	v_lshlrev_b32_e32 v47, 3, v44
	v_lshlrev_b32_e32 v48, 3, v43
	global_load_b64 v[20:21], v21, s[4:5] offset:80
	v_lshlrev_b32_e32 v49, 3, v46
	s_clause 0x2
	global_load_b64 v[54:55], v47, s[4:5] offset:80
	global_load_b64 v[56:57], v48, s[4:5] offset:80
	;; [unrolled: 1-line block ×3, first 2 shown]
	v_mul_u32_u24_e32 v47, 0xb4, v39
	v_mul_lo_u16 v39, 0x5a, v42
	v_lshlrev_b32_e32 v42, 1, v45
	v_lshlrev_b32_e32 v45, 1, v44
	v_mul_u32_u24_e32 v48, 0xb4, v40
	v_lshlrev_b32_e32 v49, 1, v43
	v_lshlrev_b32_e32 v40, 1, v46
	v_add3_u32 v44, 0, v19, v42
	v_add3_u32 v43, 0, v47, v45
	s_waitcnt vmcnt(0) lgkmcnt(0)
	v_add3_u32 v42, 0, v48, v49
	s_barrier
	buffer_gl0_inv
	v_lshrrev_b32_e32 v19, 16, v20
	v_lshrrev_b32_e32 v45, 16, v21
	;; [unrolled: 1-line block ×8, first 2 shown]
	v_mul_f16_e32 v62, v37, v19
	v_mul_f16_e32 v63, v41, v45
	;; [unrolled: 1-line block ×16, first 2 shown]
	v_fma_f16 v52, v31, v20, -v62
	v_fma_f16 v53, v33, v21, -v63
	v_fmac_f16_e32 v50, v36, v54
	v_fma_f16 v36, v28, v55, -v65
	v_fma_f16 v28, v32, v56, -v66
	;; [unrolled: 1-line block ×5, first 2 shown]
	v_fmac_f16_e32 v51, v37, v20
	v_fma_f16 v37, v30, v54, -v64
	v_fmac_f16_e32 v48, v41, v21
	v_fmac_f16_e32 v46, v38, v56
	;; [unrolled: 1-line block ×5, first 2 shown]
	v_add_f16_e32 v18, v52, v53
	v_add_f16_e32 v30, v28, v32
	;; [unrolled: 1-line block ×3, first 2 shown]
	v_fmac_f16_e32 v49, v22, v55
	v_add_f16_e32 v22, v37, v36
	v_add_f16_e32 v14, v25, v52
	v_sub_f16_e32 v21, v51, v48
	v_add_f16_e32 v20, v26, v37
	v_add_f16_e32 v29, v15, v28
	v_sub_f16_e32 v34, v46, v19
	v_add_f16_e32 v35, v13, v31
	v_sub_f16_e32 v41, v47, v45
	v_fmac_f16_e32 v25, -0.5, v18
	v_fmac_f16_e32 v15, -0.5, v30
	;; [unrolled: 1-line block ×3, first 2 shown]
	v_sub_f16_e32 v27, v50, v49
	v_fmac_f16_e32 v26, -0.5, v22
	v_add_f16_e32 v14, v14, v53
	v_add_f16_e32 v54, v20, v36
	;; [unrolled: 1-line block ×4, first 2 shown]
	v_fmamk_f16 v29, v21, 0x3aee, v25
	v_fmac_f16_e32 v25, 0xbaee, v21
	v_fmamk_f16 v22, v34, 0x3aee, v15
	v_fmac_f16_e32 v15, 0xbaee, v34
	;; [unrolled: 2-line block ×4, first 2 shown]
	ds_store_b16 v44, v14
	ds_store_b16 v44, v29 offset:60
	ds_store_b16 v44, v25 offset:120
	ds_store_b16 v43, v54
	ds_store_b16 v43, v30 offset:60
	ds_store_b16 v43, v26 offset:120
	;; [unrolled: 3-line block ×3, first 2 shown]
	s_and_saveexec_b32 s1, s0
	s_cbranch_execz .LBB0_27
; %bb.26:
	v_and_b32_e32 v14, 0xffff, v39
	s_delay_alu instid0(VALU_DEP_1) | instskip(NEXT) | instid1(VALU_DEP_1)
	v_lshlrev_b32_e32 v14, 1, v14
	v_add3_u32 v14, 0, v40, v14
	ds_store_b16 v14, v20
	ds_store_b16 v14, v21 offset:60
	ds_store_b16 v14, v13 offset:120
.LBB0_27:
	s_or_b32 exec_lo, exec_lo, s1
	s_waitcnt lgkmcnt(0)
	s_barrier
	buffer_gl0_inv
	ds_load_u16 v14, v2
	ds_load_u16 v30, v2 offset:540
	ds_load_u16 v29, v2 offset:1080
	;; [unrolled: 1-line block ×5, first 2 shown]
	v_cmp_gt_u32_e64 s1, 0x6c, v4
	s_delay_alu instid0(VALU_DEP_1)
	s_and_saveexec_b32 s2, s1
	s_cbranch_execz .LBB0_29
; %bb.28:
	ds_load_u16 v22, v2 offset:864
	ds_load_u16 v15, v2 offset:1404
	;; [unrolled: 1-line block ×4, first 2 shown]
	ds_load_u16 v18, v9
	ds_load_u16 v13, v2 offset:3024
.LBB0_29:
	s_or_b32 exec_lo, exec_lo, s2
	v_add_f16_e32 v34, v51, v48
	v_add_f16_e32 v41, v50, v49
	v_add_f16_e32 v35, v23, v51
	v_sub_f16_e32 v38, v52, v53
	v_sub_f16_e32 v36, v37, v36
	v_fmac_f16_e32 v23, -0.5, v34
	v_add_f16_e32 v34, v24, v50
	v_fmac_f16_e32 v24, -0.5, v41
	v_sub_f16_e32 v28, v28, v32
	v_add_f16_e32 v32, v16, v47
	v_fmamk_f16 v37, v38, 0xbaee, v23
	v_fmac_f16_e32 v23, 0x3aee, v38
	v_add_f16_e32 v38, v46, v19
	v_fmamk_f16 v41, v36, 0xbaee, v24
	v_fmac_f16_e32 v24, 0x3aee, v36
	v_add_f16_e32 v36, v47, v45
	v_add_f16_e32 v46, v17, v46
	v_fmac_f16_e32 v17, -0.5, v38
	v_add_f16_e32 v35, v35, v48
	v_add_f16_e32 v32, v32, v45
	v_fmac_f16_e32 v16, -0.5, v36
	v_sub_f16_e32 v36, v31, v33
	v_add_f16_e32 v19, v46, v19
	v_fmamk_f16 v33, v28, 0xbaee, v17
	v_fmac_f16_e32 v17, 0x3aee, v28
	v_add_f16_e32 v34, v34, v49
	v_fmamk_f16 v31, v36, 0xbaee, v16
	v_fmac_f16_e32 v16, 0x3aee, v36
	s_waitcnt lgkmcnt(0)
	s_barrier
	buffer_gl0_inv
	ds_store_b16 v44, v35
	ds_store_b16 v44, v37 offset:60
	ds_store_b16 v44, v23 offset:120
	ds_store_b16 v43, v34
	ds_store_b16 v43, v41 offset:60
	ds_store_b16 v43, v24 offset:120
	;; [unrolled: 3-line block ×3, first 2 shown]
	s_and_saveexec_b32 s2, s0
	s_cbranch_execz .LBB0_31
; %bb.30:
	v_and_b32_e32 v23, 0xffff, v39
	s_delay_alu instid0(VALU_DEP_1) | instskip(NEXT) | instid1(VALU_DEP_1)
	v_lshlrev_b32_e32 v23, 1, v23
	v_add3_u32 v23, 0, v40, v23
	ds_store_b16 v23, v32
	ds_store_b16 v23, v31 offset:60
	ds_store_b16 v23, v16 offset:120
.LBB0_31:
	s_or_b32 exec_lo, exec_lo, s2
	s_waitcnt lgkmcnt(0)
	s_barrier
	buffer_gl0_inv
	ds_load_u16 v28, v2
	ds_load_u16 v39, v2 offset:540
	ds_load_u16 v38, v2 offset:1080
	;; [unrolled: 1-line block ×5, first 2 shown]
	s_and_saveexec_b32 s2, s1
	s_cbranch_execz .LBB0_33
; %bb.32:
	ds_load_u16 v33, v2 offset:864
	ds_load_u16 v17, v2 offset:1404
	;; [unrolled: 1-line block ×4, first 2 shown]
	ds_load_u16 v19, v9
	ds_load_u16 v16, v2 offset:3024
.LBB0_33:
	s_or_b32 exec_lo, exec_lo, s2
	v_dual_mov_b32 v35, 0 :: v_dual_add_nc_u32 v34, 0xffffffa6, v4
	v_cmp_gt_u32_e64 s2, 0x5a, v4
	v_mul_u32_u24_e32 v12, 0x2d83, v12
	s_delay_alu instid0(VALU_DEP_2) | instskip(NEXT) | instid1(VALU_DEP_2)
	v_cndmask_b32_e64 v36, v34, v4, s2
	v_lshrrev_b32_e32 v12, 20, v12
	s_delay_alu instid0(VALU_DEP_2) | instskip(NEXT) | instid1(VALU_DEP_2)
	v_mul_i32_i24_e32 v34, 5, v36
	v_mul_lo_u16 v40, 0x5a, v12
	v_lshlrev_b32_e32 v36, 1, v36
	s_delay_alu instid0(VALU_DEP_3) | instskip(NEXT) | instid1(VALU_DEP_3)
	v_lshlrev_b64 v[34:35], 2, v[34:35]
	v_sub_nc_u16 v40, v8, v40
	s_delay_alu instid0(VALU_DEP_1) | instskip(NEXT) | instid1(VALU_DEP_3)
	v_and_b32_e32 v40, 0xffff, v40
	v_add_co_u32 v34, s2, s4, v34
	s_delay_alu instid0(VALU_DEP_1)
	v_add_co_ci_u32_e64 v35, s2, s5, v35, s2
	s_clause 0x1
	global_load_b128 v[47:50], v[34:35], off offset:320
	global_load_b32 v44, v[34:35], off offset:336
	v_mul_u32_u24_e32 v34, 5, v40
	v_cmp_lt_u32_e64 s2, 0x59, v4
	v_mul_lo_u16 v35, 0x21c, v12
	s_delay_alu instid0(VALU_DEP_3)
	v_lshlrev_b32_e32 v34, 2, v34
	s_clause 0x1
	global_load_b128 v[51:54], v34, s[4:5] offset:320
	global_load_b32 v55, v34, s[4:5] offset:336
	v_cndmask_b32_e64 v34, 0, 0x438, s2
	s_waitcnt vmcnt(0) lgkmcnt(0)
	s_barrier
	buffer_gl0_inv
	v_add3_u32 v36, 0, v34, v36
	v_lshlrev_b32_e32 v34, 1, v40
	v_lshrrev_b32_e32 v12, 16, v47
	v_lshrrev_b32_e32 v40, 16, v48
	;; [unrolled: 1-line block ×5, first 2 shown]
	v_mul_f16_e32 v57, v39, v12
	v_mul_f16_e32 v42, v30, v12
	v_mul_f16_e32 v12, v38, v40
	v_mul_f16_e32 v46, v29, v40
	v_mul_f16_e32 v58, v37, v41
	v_mul_f16_e32 v45, v27, v41
	v_mul_f16_e32 v59, v24, v43
	v_lshrrev_b32_e32 v62, 16, v53
	v_lshrrev_b32_e32 v64, 16, v55
	v_mul_f16_e32 v40, v26, v43
	v_mul_f16_e32 v60, v23, v56
	;; [unrolled: 1-line block ×3, first 2 shown]
	v_lshrrev_b32_e32 v56, 16, v51
	v_lshrrev_b32_e32 v61, 16, v52
	;; [unrolled: 1-line block ×3, first 2 shown]
	v_fma_f16 v43, v30, v47, -v57
	v_fmac_f16_e32 v42, v39, v47
	v_fma_f16 v47, v29, v48, -v12
	v_fmac_f16_e32 v46, v38, v48
	;; [unrolled: 2-line block ×3, first 2 shown]
	v_fma_f16 v48, v26, v50, -v59
	v_mul_f16_e32 v26, v32, v62
	v_mul_f16_e32 v37, v20, v62
	;; [unrolled: 1-line block ×4, first 2 shown]
	v_fmac_f16_e32 v40, v24, v50
	v_fma_f16 v24, v25, v44, -v60
	v_fmac_f16_e32 v41, v23, v44
	v_mul_f16_e32 v23, v33, v56
	v_mul_f16_e32 v29, v22, v56
	;; [unrolled: 1-line block ×6, first 2 shown]
	v_add_f16_e32 v50, v14, v47
	v_add_f16_e32 v58, v43, v12
	v_fma_f16 v20, v20, v53, -v26
	v_fmac_f16_e32 v37, v32, v53
	v_fma_f16 v13, v13, v55, -v49
	v_fmac_f16_e32 v30, v16, v55
	v_add_f16_e32 v59, v12, v24
	v_add_f16_e32 v61, v45, v41
	v_fma_f16 v38, v22, v51, -v23
	v_fmac_f16_e32 v29, v33, v51
	v_fma_f16 v15, v15, v52, -v25
	v_fmac_f16_e32 v44, v17, v52
	;; [unrolled: 2-line block ×3, first 2 shown]
	v_add_f16_e32 v16, v50, v48
	v_add_f16_e32 v21, v58, v24
	;; [unrolled: 1-line block ×4, first 2 shown]
	v_sub_f16_e32 v60, v45, v41
	v_sub_f16_e32 v12, v12, v24
	v_fmac_f16_e32 v43, -0.5, v59
	v_fma_f16 v33, -0.5, v61, v42
	v_add_f16_e32 v23, v15, v17
	v_add_f16_e32 v25, v38, v20
	v_sub_f16_e32 v27, v37, v30
	v_sub_f16_e32 v51, v20, v13
	v_add_f16_e32 v53, v16, v21
	v_sub_f16_e32 v54, v16, v21
	v_fmac_f16_e32 v38, -0.5, v26
	v_fma_f16 v16, -0.5, v31, v29
	v_add_f16_e32 v56, v47, v48
	v_add_f16_e32 v22, v18, v15
	v_sub_f16_e32 v24, v44, v39
	v_fmamk_f16 v50, v60, 0x3aee, v43
	v_fmac_f16_e32 v43, 0xbaee, v60
	v_fmamk_f16 v49, v12, 0xbaee, v33
	v_fmac_f16_e32 v18, -0.5, v23
	v_fmamk_f16 v32, v27, 0x3aee, v38
	v_fmamk_f16 v31, v51, 0xbaee, v16
	v_fmac_f16_e32 v38, 0xbaee, v27
	v_sub_f16_e32 v57, v46, v40
	v_fmac_f16_e32 v14, -0.5, v56
	v_fmac_f16_e32 v33, 0x3aee, v12
	v_add_f16_e32 v20, v22, v17
	v_add_f16_e32 v21, v25, v13
	v_mul_f16_e32 v13, 0x3aee, v49
	v_mul_f16_e32 v25, -0.5, v43
	v_fmamk_f16 v22, v24, 0x3aee, v18
	v_fmac_f16_e32 v18, 0xbaee, v24
	v_fmac_f16_e32 v16, 0x3aee, v51
	v_mul_f16_e32 v23, 0x3aee, v31
	v_mul_f16_e32 v24, -0.5, v38
	v_fmamk_f16 v52, v57, 0x3aee, v14
	v_fmac_f16_e32 v14, 0xbaee, v57
	v_fmac_f16_e32 v13, 0.5, v50
	v_fmac_f16_e32 v25, 0x3aee, v33
	v_fmac_f16_e32 v23, 0.5, v32
	v_fmac_f16_e32 v24, 0x3aee, v16
	v_sub_f16_e32 v12, v20, v21
	v_add_f16_e32 v26, v52, v13
	v_add_f16_e32 v27, v14, v25
	v_sub_f16_e32 v51, v52, v13
	v_sub_f16_e32 v25, v14, v25
	;; [unrolled: 1-line block ×4, first 2 shown]
	ds_store_b16 v36, v53
	ds_store_b16 v36, v26 offset:180
	ds_store_b16 v36, v27 offset:360
	;; [unrolled: 1-line block ×5, first 2 shown]
	s_and_saveexec_b32 s2, s1
	s_cbranch_execz .LBB0_35
; %bb.34:
	v_and_b32_e32 v25, 0xffff, v35
	v_add_f16_e32 v20, v20, v21
	v_add_f16_e32 v22, v22, v23
	;; [unrolled: 1-line block ×3, first 2 shown]
	s_delay_alu instid0(VALU_DEP_4) | instskip(NEXT) | instid1(VALU_DEP_1)
	v_lshlrev_b32_e32 v25, 1, v25
	v_add3_u32 v21, 0, v34, v25
	ds_store_b16 v21, v20
	ds_store_b16 v21, v22 offset:180
	ds_store_b16 v21, v18 offset:360
	;; [unrolled: 1-line block ×5, first 2 shown]
.LBB0_35:
	s_or_b32 exec_lo, exec_lo, s2
	s_waitcnt lgkmcnt(0)
	s_barrier
	buffer_gl0_inv
	ds_load_u16 v18, v2
	ds_load_u16 v21, v2 offset:1080
	ds_load_u16 v24, v2 offset:1404
	;; [unrolled: 1-line block ×3, first 2 shown]
	ds_load_u16 v23, v11
	ds_load_u16 v20, v9
	ds_load_u16 v26, v2 offset:2808
	ds_load_u16 v22, v2 offset:2160
	;; [unrolled: 1-line block ×3, first 2 shown]
	s_and_saveexec_b32 s2, s0
	s_cbranch_execz .LBB0_37
; %bb.36:
	ds_load_u16 v13, v2 offset:2052
	ds_load_u16 v12, v10
	ds_load_u16 v14, v2 offset:3132
.LBB0_37:
	s_or_b32 exec_lo, exec_lo, s2
	v_add_f16_e32 v51, v46, v40
	v_add_f16_e32 v46, v28, v46
	;; [unrolled: 1-line block ×3, first 2 shown]
	v_sub_f16_e32 v47, v47, v48
	v_mul_f16_e32 v48, -0.5, v33
	v_sub_f16_e32 v15, v15, v17
	v_add_f16_e32 v33, v46, v40
	v_add_f16_e32 v40, v42, v41
	;; [unrolled: 1-line block ×5, first 2 shown]
	v_mul_f16_e32 v29, 0xbaee, v32
	v_mul_f16_e32 v32, -0.5, v16
	v_fmac_f16_e32 v19, -0.5, v42
	v_mul_f16_e32 v45, 0xbaee, v50
	v_fmac_f16_e32 v28, -0.5, v51
	v_fmac_f16_e32 v48, 0xbaee, v43
	v_add_f16_e32 v43, v33, v40
	v_sub_f16_e32 v40, v33, v40
	v_add_f16_e32 v33, v44, v39
	v_fmamk_f16 v37, v15, 0xbaee, v19
	v_fmac_f16_e32 v19, 0x3aee, v15
	v_add_f16_e32 v30, v17, v30
	v_fmac_f16_e32 v29, 0.5, v31
	v_fmac_f16_e32 v32, 0xbaee, v38
	v_fmac_f16_e32 v45, 0.5, v49
	v_fmamk_f16 v41, v47, 0xbaee, v28
	v_fmac_f16_e32 v28, 0x3aee, v47
	v_sub_f16_e32 v15, v33, v30
	v_sub_f16_e32 v16, v37, v29
	;; [unrolled: 1-line block ×3, first 2 shown]
	v_add_f16_e32 v46, v41, v45
	v_add_f16_e32 v47, v28, v48
	v_sub_f16_e32 v31, v41, v45
	v_sub_f16_e32 v28, v28, v48
	s_waitcnt lgkmcnt(0)
	s_barrier
	buffer_gl0_inv
	ds_store_b16 v36, v43
	ds_store_b16 v36, v46 offset:180
	ds_store_b16 v36, v47 offset:360
	;; [unrolled: 1-line block ×5, first 2 shown]
	s_and_saveexec_b32 s2, s1
	s_cbranch_execz .LBB0_39
; %bb.38:
	v_and_b32_e32 v28, 0xffff, v35
	v_add_f16_e32 v30, v33, v30
	v_add_f16_e32 v29, v37, v29
	;; [unrolled: 1-line block ×3, first 2 shown]
	s_delay_alu instid0(VALU_DEP_4) | instskip(NEXT) | instid1(VALU_DEP_1)
	v_lshlrev_b32_e32 v28, 1, v28
	v_add3_u32 v28, 0, v34, v28
	ds_store_b16 v28, v30
	ds_store_b16 v28, v29 offset:180
	ds_store_b16 v28, v19 offset:360
	ds_store_b16 v28, v15 offset:540
	ds_store_b16 v28, v16 offset:720
	ds_store_b16 v28, v17 offset:900
.LBB0_39:
	s_or_b32 exec_lo, exec_lo, s2
	s_waitcnt lgkmcnt(0)
	s_barrier
	buffer_gl0_inv
	ds_load_u16 v19, v2
	ds_load_u16 v28, v2 offset:1080
	ds_load_u16 v30, v2 offset:1404
	;; [unrolled: 1-line block ×3, first 2 shown]
	ds_load_u16 v29, v11
	ds_load_u16 v9, v9
	ds_load_u16 v32, v2 offset:2808
	ds_load_u16 v11, v2 offset:2160
	;; [unrolled: 1-line block ×3, first 2 shown]
	s_and_saveexec_b32 s1, s0
	s_cbranch_execz .LBB0_41
; %bb.40:
	ds_load_u16 v16, v2 offset:2052
	ds_load_u16 v15, v10
	ds_load_u16 v17, v2 offset:3132
.LBB0_41:
	s_or_b32 exec_lo, exec_lo, s1
	s_and_saveexec_b32 s1, vcc_lo
	s_cbranch_execz .LBB0_44
; %bb.42:
	v_dual_mov_b32 v3, 0 :: v_dual_lshlrev_b32 v2, 1, v3
	v_mad_u64_u32 v[40:41], null, s8, v4, 0
	v_add_nc_u32_e32 v56, 0x21c, v4
	v_mul_hi_u32 v10, 0xf2b9d649, v7
	s_delay_alu instid0(VALU_DEP_4) | instskip(SKIP_4) | instid1(VALU_DEP_4)
	v_lshlrev_b64 v[34:35], 2, v[2:3]
	v_lshlrev_b32_e32 v2, 1, v8
	v_add_nc_u32_e32 v57, 0x438, v4
	v_mad_u64_u32 v[42:43], null, s8, v6, 0
	v_mad_u64_u32 v[44:45], null, s8, v56, 0
	v_lshlrev_b64 v[36:37], 2, v[2:3]
	v_lshlrev_b32_e32 v2, 1, v4
	v_add_co_u32 v34, vcc_lo, s4, v34
	v_add_co_ci_u32_e32 v35, vcc_lo, s5, v35, vcc_lo
	s_delay_alu instid0(VALU_DEP_3)
	v_lshlrev_b64 v[38:39], 2, v[2:3]
	v_add_co_u32 v36, vcc_lo, s4, v36
	global_load_b64 v[34:35], v[34:35], off offset:2120
	v_add_co_ci_u32_e32 v37, vcc_lo, s5, v37, vcc_lo
	v_add_co_u32 v38, vcc_lo, s4, v38
	v_add_co_ci_u32_e32 v39, vcc_lo, s5, v39, vcc_lo
	global_load_b64 v[36:37], v[36:37], off offset:2120
	v_mov_b32_e32 v2, v41
	v_mad_u64_u32 v[46:47], null, s8, v57, 0
	global_load_b64 v[38:39], v[38:39], off offset:2120
	v_lshrrev_b32_e32 v41, 9, v10
	v_dual_mov_b32 v8, v43 :: v_dual_add_nc_u32 v59, 0x4da, v4
	v_mad_u64_u32 v[52:53], null, s9, v4, v[2:3]
	s_delay_alu instid0(VALU_DEP_3)
	v_mad_u32_u24 v60, 0x438, v41, v7
	v_mov_b32_e32 v2, v45
	v_mov_b32_e32 v10, v47
	s_waitcnt lgkmcnt(3)
	v_mad_u64_u32 v[53:54], null, s9, v6, v[8:9]
	v_add_nc_u32_e32 v61, 0x438, v60
	v_mad_u64_u32 v[54:55], null, s9, v56, v[2:3]
	s_waitcnt lgkmcnt(1)
	v_mad_u64_u32 v[55:56], null, s9, v57, v[10:11]
	v_add_nc_u32_e32 v58, 0x2be, v4
	v_mad_u64_u32 v[50:51], null, s8, v59, 0
	v_dual_mov_b32 v41, v52 :: v_dual_add_nc_u32 v10, 0x21c, v60
	v_mov_b32_e32 v43, v53
	v_mov_b32_e32 v47, v55
	v_mad_u64_u32 v[48:49], null, s8, v58, 0
	v_mov_b32_e32 v8, v51
	v_mad_u64_u32 v[52:53], null, s8, v10, 0
	v_mov_b32_e32 v45, v54
	v_lshlrev_b64 v[40:41], 2, v[40:41]
	v_add_co_u32 v0, vcc_lo, s10, v0
	v_mov_b32_e32 v6, v49
	v_add_co_ci_u32_e32 v1, vcc_lo, s11, v1, vcc_lo
	v_lshlrev_b64 v[42:43], 2, v[42:43]
	v_lshlrev_b64 v[44:45], 2, v[44:45]
	s_delay_alu instid0(VALU_DEP_4) | instskip(SKIP_3) | instid1(VALU_DEP_4)
	v_mad_u64_u32 v[56:57], null, s9, v58, v[6:7]
	v_mad_u64_u32 v[6:7], null, s9, v59, v[8:9]
	;; [unrolled: 1-line block ×4, first 2 shown]
	v_mov_b32_e32 v49, v56
	v_add_co_u32 v40, vcc_lo, v0, v40
	s_delay_alu instid0(VALU_DEP_4) | instskip(SKIP_3) | instid1(VALU_DEP_4)
	v_dual_mov_b32 v51, v6 :: v_dual_mov_b32 v2, v8
	v_add_co_ci_u32_e32 v41, vcc_lo, v1, v41, vcc_lo
	v_mov_b32_e32 v6, v58
	v_lshlrev_b64 v[46:47], 2, v[46:47]
	v_mad_u64_u32 v[54:55], null, s9, v60, v[2:3]
	v_mov_b32_e32 v2, v53
	s_delay_alu instid0(VALU_DEP_4) | instskip(SKIP_1) | instid1(VALU_DEP_3)
	v_mad_u64_u32 v[58:59], null, s9, v61, v[6:7]
	v_add_co_u32 v42, vcc_lo, v0, v42
	v_mad_u64_u32 v[55:56], null, s9, v10, v[2:3]
	v_mov_b32_e32 v8, v54
	v_add_co_ci_u32_e32 v43, vcc_lo, v1, v43, vcc_lo
	v_lshlrev_b64 v[48:49], 2, v[48:49]
	v_add_co_u32 v44, vcc_lo, v0, v44
	v_mov_b32_e32 v53, v55
	v_lshlrev_b64 v[6:7], 2, v[7:8]
	v_lshlrev_b64 v[54:55], 2, v[57:58]
	v_add_co_ci_u32_e32 v45, vcc_lo, v1, v45, vcc_lo
	v_lshlrev_b64 v[50:51], 2, v[50:51]
	v_add_co_u32 v46, vcc_lo, v0, v46
	v_add_co_ci_u32_e32 v47, vcc_lo, v1, v47, vcc_lo
	v_add_co_u32 v48, vcc_lo, v0, v48
	v_add_co_ci_u32_e32 v49, vcc_lo, v1, v49, vcc_lo
	v_add_co_u32 v50, vcc_lo, v0, v50
	v_lshlrev_b64 v[52:53], 2, v[52:53]
	v_add_co_ci_u32_e32 v51, vcc_lo, v1, v51, vcc_lo
	v_add_co_u32 v6, vcc_lo, v0, v6
	v_add_co_ci_u32_e32 v7, vcc_lo, v1, v7, vcc_lo
	s_delay_alu instid0(VALU_DEP_4)
	v_add_co_u32 v52, vcc_lo, v0, v52
	v_add_co_ci_u32_e32 v53, vcc_lo, v1, v53, vcc_lo
	v_add_co_u32 v54, vcc_lo, v0, v54
	v_add_co_ci_u32_e32 v55, vcc_lo, v1, v55, vcc_lo
	s_waitcnt vmcnt(2)
	v_lshrrev_b32_e32 v2, 16, v34
	v_lshrrev_b32_e32 v8, 16, v35
	s_waitcnt lgkmcnt(0)
	s_delay_alu instid0(VALU_DEP_2) | instskip(NEXT) | instid1(VALU_DEP_2)
	v_mul_f16_e32 v10, v33, v2
	v_mul_f16_e32 v56, v32, v8
	;; [unrolled: 1-line block ×4, first 2 shown]
	s_waitcnt vmcnt(1)
	v_lshrrev_b32_e32 v57, 16, v36
	v_lshrrev_b32_e32 v58, 16, v37
	v_fma_f16 v10, v27, v34, -v10
	v_fma_f16 v26, v26, v35, -v56
	v_fmac_f16_e32 v2, v33, v34
	v_fmac_f16_e32 v8, v32, v35
	v_mul_f16_e32 v27, v30, v57
	v_mul_f16_e32 v32, v31, v58
	;; [unrolled: 1-line block ×4, first 2 shown]
	s_waitcnt vmcnt(0)
	v_lshrrev_b32_e32 v35, 16, v38
	v_lshrrev_b32_e32 v56, 16, v39
	v_add_f16_e32 v60, v10, v26
	v_fma_f16 v24, v24, v36, -v27
	v_fma_f16 v25, v25, v37, -v32
	v_fmac_f16_e32 v33, v30, v36
	v_fmac_f16_e32 v34, v31, v37
	v_mul_f16_e32 v27, v28, v35
	v_mul_f16_e32 v30, v11, v56
	;; [unrolled: 1-line block ×4, first 2 shown]
	v_sub_f16_e32 v57, v10, v26
	v_add_f16_e32 v10, v23, v10
	v_add_f16_e32 v58, v2, v8
	v_add_f16_e32 v59, v29, v2
	v_sub_f16_e32 v2, v2, v8
	v_fma_f16 v23, -0.5, v60, v23
	v_add_f16_e32 v35, v33, v34
	v_add_f16_e32 v36, v9, v33
	v_fma_f16 v21, v21, v38, -v27
	v_fma_f16 v22, v22, v39, -v30
	v_fmac_f16_e32 v31, v28, v38
	v_fmac_f16_e32 v32, v11, v39
	v_add_f16_e32 v10, v10, v26
	v_sub_f16_e32 v26, v24, v25
	v_add_f16_e32 v37, v24, v25
	v_add_f16_e32 v24, v20, v24
	v_sub_f16_e32 v33, v33, v34
	v_fmamk_f16 v27, v2, 0xbaee, v23
	v_fmac_f16_e32 v23, 0x3aee, v2
	v_fma_f16 v2, -0.5, v35, v9
	v_add_f16_e32 v9, v36, v34
	v_add_f16_e32 v28, v31, v32
	;; [unrolled: 1-line block ×4, first 2 shown]
	v_sub_f16_e32 v25, v21, v22
	v_add_f16_e32 v30, v19, v31
	v_add_f16_e32 v21, v18, v21
	v_sub_f16_e32 v31, v31, v32
	v_fma_f16 v19, -0.5, v28, v19
	v_fma_f16 v18, -0.5, v34, v18
	v_add_f16_e32 v8, v59, v8
	v_fma_f16 v20, -0.5, v37, v20
	v_fma_f16 v29, -0.5, v58, v29
	v_add_f16_e32 v28, v30, v32
	v_add_f16_e32 v21, v21, v22
	v_fmamk_f16 v22, v25, 0x3aee, v19
	v_fmac_f16_e32 v19, 0xbaee, v25
	v_fmamk_f16 v25, v31, 0xbaee, v18
	v_fmac_f16_e32 v18, 0x3aee, v31
	v_pack_b32_f16 v8, v10, v8
	v_fmamk_f16 v10, v26, 0x3aee, v2
	v_fmac_f16_e32 v2, 0xbaee, v26
	v_fmamk_f16 v26, v33, 0xbaee, v20
	v_fmac_f16_e32 v20, 0x3aee, v33
	;; [unrolled: 2-line block ×3, first 2 shown]
	v_pack_b32_f16 v21, v21, v28
	v_pack_b32_f16 v18, v18, v19
	;; [unrolled: 1-line block ×8, first 2 shown]
	s_clause 0x8
	global_store_b32 v[40:41], v21, off
	global_store_b32 v[44:45], v18, off
	;; [unrolled: 1-line block ×9, first 2 shown]
	s_and_b32 exec_lo, exec_lo, s0
	s_cbranch_execz .LBB0_44
; %bb.43:
	v_subrev_nc_u32_e32 v2, 54, v4
	v_add_nc_u32_e32 v18, 0x1e6, v4
	v_add_nc_u32_e32 v20, 0x402, v4
	;; [unrolled: 1-line block ×3, first 2 shown]
	s_delay_alu instid0(VALU_DEP_4) | instskip(NEXT) | instid1(VALU_DEP_4)
	v_cndmask_b32_e64 v2, v2, v5, s0
	v_mad_u64_u32 v[4:5], null, s8, v18, 0
	s_delay_alu instid0(VALU_DEP_4) | instskip(NEXT) | instid1(VALU_DEP_4)
	v_mad_u64_u32 v[6:7], null, s8, v20, 0
	v_mad_u64_u32 v[8:9], null, s8, v21, 0
	s_delay_alu instid0(VALU_DEP_2) | instskip(SKIP_1) | instid1(VALU_DEP_3)
	v_mad_u64_u32 v[10:11], null, s9, v18, v[5:6]
	v_lshlrev_b32_e32 v2, 1, v2
	v_mad_u64_u32 v[18:19], null, s9, v20, v[7:8]
	s_delay_alu instid0(VALU_DEP_3) | instskip(NEXT) | instid1(VALU_DEP_3)
	v_mov_b32_e32 v5, v10
	v_lshlrev_b64 v[2:3], 2, v[2:3]
	v_mad_u64_u32 v[19:20], null, s9, v21, v[9:10]
	s_delay_alu instid0(VALU_DEP_4) | instskip(NEXT) | instid1(VALU_DEP_4)
	v_mov_b32_e32 v7, v18
	v_lshlrev_b64 v[4:5], 2, v[4:5]
	s_delay_alu instid0(VALU_DEP_4)
	v_add_co_u32 v2, vcc_lo, s4, v2
	v_add_co_ci_u32_e32 v3, vcc_lo, s5, v3, vcc_lo
	v_mov_b32_e32 v9, v19
	v_lshlrev_b64 v[6:7], 2, v[6:7]
	v_add_co_u32 v4, vcc_lo, v0, v4
	global_load_b64 v[2:3], v[2:3], off offset:2120
	v_add_co_ci_u32_e32 v5, vcc_lo, v1, v5, vcc_lo
	v_lshlrev_b64 v[8:9], 2, v[8:9]
	s_waitcnt vmcnt(0)
	v_lshrrev_b32_e32 v10, 16, v2
	v_lshrrev_b32_e32 v11, 16, v3
	s_delay_alu instid0(VALU_DEP_2) | instskip(SKIP_1) | instid1(VALU_DEP_3)
	v_mul_f16_e32 v18, v16, v10
	v_mul_f16_e32 v10, v13, v10
	;; [unrolled: 1-line block ×4, first 2 shown]
	s_delay_alu instid0(VALU_DEP_4) | instskip(NEXT) | instid1(VALU_DEP_4)
	v_fma_f16 v13, v13, v2, -v18
	v_fmac_f16_e32 v10, v16, v2
	s_delay_alu instid0(VALU_DEP_4) | instskip(NEXT) | instid1(VALU_DEP_4)
	v_fma_f16 v14, v14, v3, -v19
	v_fmac_f16_e32 v11, v17, v3
	v_add_co_u32 v2, vcc_lo, v0, v6
	v_add_co_ci_u32_e32 v3, vcc_lo, v1, v7, vcc_lo
	s_delay_alu instid0(VALU_DEP_4) | instskip(NEXT) | instid1(VALU_DEP_4)
	v_add_f16_e32 v6, v13, v14
	v_add_f16_e32 v16, v10, v11
	;; [unrolled: 1-line block ×3, first 2 shown]
	v_sub_f16_e32 v17, v10, v11
	v_add_f16_e32 v10, v15, v10
	v_fmac_f16_e32 v12, -0.5, v6
	v_sub_f16_e32 v6, v13, v14
	v_fmac_f16_e32 v15, -0.5, v16
	v_add_f16_e32 v7, v7, v14
	v_add_f16_e32 v10, v10, v11
	v_fmamk_f16 v11, v17, 0x3aee, v12
	v_fmac_f16_e32 v12, 0xbaee, v17
	v_fmamk_f16 v13, v6, 0xbaee, v15
	v_fmac_f16_e32 v15, 0x3aee, v6
	v_add_co_u32 v0, vcc_lo, v0, v8
	v_pack_b32_f16 v6, v7, v10
	s_delay_alu instid0(VALU_DEP_4)
	v_pack_b32_f16 v7, v11, v13
	v_add_co_ci_u32_e32 v1, vcc_lo, v1, v9, vcc_lo
	v_pack_b32_f16 v8, v12, v15
	s_clause 0x2
	global_store_b32 v[4:5], v6, off
	global_store_b32 v[2:3], v7, off
	;; [unrolled: 1-line block ×3, first 2 shown]
.LBB0_44:
	s_nop 0
	s_sendmsg sendmsg(MSG_DEALLOC_VGPRS)
	s_endpgm
	.section	.rodata,"a",@progbits
	.p2align	6, 0x0
	.amdhsa_kernel fft_rtc_fwd_len1620_factors_10_3_3_6_3_wgs_162_tpt_162_halfLds_half_ip_CI_sbrr_dirReg
		.amdhsa_group_segment_fixed_size 0
		.amdhsa_private_segment_fixed_size 0
		.amdhsa_kernarg_size 88
		.amdhsa_user_sgpr_count 15
		.amdhsa_user_sgpr_dispatch_ptr 0
		.amdhsa_user_sgpr_queue_ptr 0
		.amdhsa_user_sgpr_kernarg_segment_ptr 1
		.amdhsa_user_sgpr_dispatch_id 0
		.amdhsa_user_sgpr_private_segment_size 0
		.amdhsa_wavefront_size32 1
		.amdhsa_uses_dynamic_stack 0
		.amdhsa_enable_private_segment 0
		.amdhsa_system_sgpr_workgroup_id_x 1
		.amdhsa_system_sgpr_workgroup_id_y 0
		.amdhsa_system_sgpr_workgroup_id_z 0
		.amdhsa_system_sgpr_workgroup_info 0
		.amdhsa_system_vgpr_workitem_id 0
		.amdhsa_next_free_vgpr 72
		.amdhsa_next_free_sgpr 23
		.amdhsa_reserve_vcc 1
		.amdhsa_float_round_mode_32 0
		.amdhsa_float_round_mode_16_64 0
		.amdhsa_float_denorm_mode_32 3
		.amdhsa_float_denorm_mode_16_64 3
		.amdhsa_dx10_clamp 1
		.amdhsa_ieee_mode 1
		.amdhsa_fp16_overflow 0
		.amdhsa_workgroup_processor_mode 1
		.amdhsa_memory_ordered 1
		.amdhsa_forward_progress 0
		.amdhsa_shared_vgpr_count 0
		.amdhsa_exception_fp_ieee_invalid_op 0
		.amdhsa_exception_fp_denorm_src 0
		.amdhsa_exception_fp_ieee_div_zero 0
		.amdhsa_exception_fp_ieee_overflow 0
		.amdhsa_exception_fp_ieee_underflow 0
		.amdhsa_exception_fp_ieee_inexact 0
		.amdhsa_exception_int_div_zero 0
	.end_amdhsa_kernel
	.text
.Lfunc_end0:
	.size	fft_rtc_fwd_len1620_factors_10_3_3_6_3_wgs_162_tpt_162_halfLds_half_ip_CI_sbrr_dirReg, .Lfunc_end0-fft_rtc_fwd_len1620_factors_10_3_3_6_3_wgs_162_tpt_162_halfLds_half_ip_CI_sbrr_dirReg
                                        ; -- End function
	.section	.AMDGPU.csdata,"",@progbits
; Kernel info:
; codeLenInByte = 9340
; NumSgprs: 25
; NumVgprs: 72
; ScratchSize: 0
; MemoryBound: 0
; FloatMode: 240
; IeeeMode: 1
; LDSByteSize: 0 bytes/workgroup (compile time only)
; SGPRBlocks: 3
; VGPRBlocks: 8
; NumSGPRsForWavesPerEU: 25
; NumVGPRsForWavesPerEU: 72
; Occupancy: 15
; WaveLimiterHint : 1
; COMPUTE_PGM_RSRC2:SCRATCH_EN: 0
; COMPUTE_PGM_RSRC2:USER_SGPR: 15
; COMPUTE_PGM_RSRC2:TRAP_HANDLER: 0
; COMPUTE_PGM_RSRC2:TGID_X_EN: 1
; COMPUTE_PGM_RSRC2:TGID_Y_EN: 0
; COMPUTE_PGM_RSRC2:TGID_Z_EN: 0
; COMPUTE_PGM_RSRC2:TIDIG_COMP_CNT: 0
	.text
	.p2alignl 7, 3214868480
	.fill 96, 4, 3214868480
	.type	__hip_cuid_385df8a6337d75f2,@object ; @__hip_cuid_385df8a6337d75f2
	.section	.bss,"aw",@nobits
	.globl	__hip_cuid_385df8a6337d75f2
__hip_cuid_385df8a6337d75f2:
	.byte	0                               ; 0x0
	.size	__hip_cuid_385df8a6337d75f2, 1

	.ident	"AMD clang version 19.0.0git (https://github.com/RadeonOpenCompute/llvm-project roc-6.4.0 25133 c7fe45cf4b819c5991fe208aaa96edf142730f1d)"
	.section	".note.GNU-stack","",@progbits
	.addrsig
	.addrsig_sym __hip_cuid_385df8a6337d75f2
	.amdgpu_metadata
---
amdhsa.kernels:
  - .args:
      - .actual_access:  read_only
        .address_space:  global
        .offset:         0
        .size:           8
        .value_kind:     global_buffer
      - .offset:         8
        .size:           8
        .value_kind:     by_value
      - .actual_access:  read_only
        .address_space:  global
        .offset:         16
        .size:           8
        .value_kind:     global_buffer
      - .actual_access:  read_only
        .address_space:  global
        .offset:         24
        .size:           8
        .value_kind:     global_buffer
      - .offset:         32
        .size:           8
        .value_kind:     by_value
      - .actual_access:  read_only
        .address_space:  global
        .offset:         40
        .size:           8
        .value_kind:     global_buffer
      - .actual_access:  read_only
        .address_space:  global
        .offset:         48
        .size:           8
        .value_kind:     global_buffer
      - .offset:         56
        .size:           4
        .value_kind:     by_value
      - .actual_access:  read_only
        .address_space:  global
        .offset:         64
        .size:           8
        .value_kind:     global_buffer
      - .actual_access:  read_only
        .address_space:  global
        .offset:         72
        .size:           8
        .value_kind:     global_buffer
      - .address_space:  global
        .offset:         80
        .size:           8
        .value_kind:     global_buffer
    .group_segment_fixed_size: 0
    .kernarg_segment_align: 8
    .kernarg_segment_size: 88
    .language:       OpenCL C
    .language_version:
      - 2
      - 0
    .max_flat_workgroup_size: 162
    .name:           fft_rtc_fwd_len1620_factors_10_3_3_6_3_wgs_162_tpt_162_halfLds_half_ip_CI_sbrr_dirReg
    .private_segment_fixed_size: 0
    .sgpr_count:     25
    .sgpr_spill_count: 0
    .symbol:         fft_rtc_fwd_len1620_factors_10_3_3_6_3_wgs_162_tpt_162_halfLds_half_ip_CI_sbrr_dirReg.kd
    .uniform_work_group_size: 1
    .uses_dynamic_stack: false
    .vgpr_count:     72
    .vgpr_spill_count: 0
    .wavefront_size: 32
    .workgroup_processor_mode: 1
amdhsa.target:   amdgcn-amd-amdhsa--gfx1100
amdhsa.version:
  - 1
  - 2
...

	.end_amdgpu_metadata
